;; amdgpu-corpus repo=ROCm/rocm-examples kind=compiled arch=gfx1100 opt=O3
	.text
	.amdgcn_target "amdgcn-amd-amdhsa--gfx1100"
	.amdhsa_code_object_version 6
	.protected	_Z21float_to_fp8_to_floatPf26__hip_fp8_interpretation_t18__hip_saturation_tS_m ; -- Begin function _Z21float_to_fp8_to_floatPf26__hip_fp8_interpretation_t18__hip_saturation_tS_m
	.globl	_Z21float_to_fp8_to_floatPf26__hip_fp8_interpretation_t18__hip_saturation_tS_m
	.p2align	8
	.type	_Z21float_to_fp8_to_floatPf26__hip_fp8_interpretation_t18__hip_saturation_tS_m,@function
_Z21float_to_fp8_to_floatPf26__hip_fp8_interpretation_t18__hip_saturation_tS_m: ; @_Z21float_to_fp8_to_floatPf26__hip_fp8_interpretation_t18__hip_saturation_tS_m
; %bb.0:
	s_load_b128 s[4:7], s[0:1], 0x10
	v_mov_b32_e32 v1, 0
	s_mov_b32 s2, exec_lo
	s_waitcnt lgkmcnt(0)
	s_delay_alu instid0(VALU_DEP_1)
	v_cmpx_gt_u64_e64 s[6:7], v[0:1]
	s_cbranch_execz .LBB0_69
; %bb.1:
	s_load_b128 s[0:3], s[0:1], 0x0
	v_lshlrev_b32_e32 v7, 2, v0
	s_waitcnt lgkmcnt(0)
	global_load_b32 v10, v7, s[0:1]
	s_and_b32 s1, s2, -2
	s_cmp_eq_u32 s3, 1
	s_cselect_b32 s0, -1, 0
	s_cmp_lg_u32 s3, 1
	s_cselect_b32 s10, -1, 0
	s_cmp_lg_u32 s1, 2
	s_waitcnt vmcnt(0)
	v_lshrrev_b32_e32 v11, 24, v10
	v_and_b32_e32 v0, 0x7fffff, v10
	v_bfe_u32 v9, v10, 23, 8
	v_and_b32_e32 v2, 0x7f800000, v10
	s_delay_alu instid0(VALU_DEP_4)
	v_and_b32_e32 v8, 0x80, v11
	s_cbranch_scc0 .LBB0_20
; %bb.2:
	s_and_b32 s3, s0, exec_lo
	s_movk_i32 s1, 0x7b
	s_movk_i32 s3, 0x7e
	s_cselect_b32 s6, s1, 0x7c
	s_cselect_b32 s3, s3, 0x7f
	s_cmp_eq_u32 s2, 0
	v_mov_b32_e32 v3, 0
	s_cselect_b32 s1, -1, 0
                                        ; implicit-def: $vgpr5
	s_delay_alu instid0(SALU_CYCLE_1)
	s_and_b32 s7, s1, exec_lo
	s_cselect_b32 s3, s3, s6
	s_mov_b32 s7, 0
	v_or_b32_e32 v12, s3, v8
	s_mov_b32 s3, exec_lo
	v_cmpx_ne_u64_e32 0x7f800000, v[2:3]
	s_xor_b32 s3, exec_lo, s3
	s_cbranch_execz .LBB0_37
; %bb.3:
	v_dual_mov_b32 v5, v3 :: v_dual_and_b32 v4, 0x7fffffff, v10
	s_mov_b32 s6, 0x43e00000
	s_and_b32 s8, s1, exec_lo
	s_cselect_b32 s6, s6, 0x47600000
	s_delay_alu instid0(VALU_DEP_1) | instid1(SALU_CYCLE_1)
	v_cmp_ge_u64_e32 vcc_lo, s[6:7], v[4:5]
                                        ; implicit-def: $vgpr5
	s_and_saveexec_b32 s6, vcc_lo
	s_delay_alu instid0(SALU_CYCLE_1)
	s_xor_b32 s8, exec_lo, s6
	s_cbranch_execz .LBB0_34
; %bb.4:
	v_mov_b32_e32 v5, 0
	s_mov_b32 s9, exec_lo
	v_cmpx_ne_u32_e32 0, v10
	s_cbranch_execz .LBB0_33
; %bb.5:
	s_and_b32 s6, s1, exec_lo
	s_cselect_b32 s6, 4, 5
	s_mov_b32 s11, exec_lo
	s_add_i32 s7, s6, -1
                                        ; implicit-def: $vgpr3_vgpr4
                                        ; implicit-def: $vgpr14
                                        ; implicit-def: $vgpr13
	s_delay_alu instid0(SALU_CYCLE_1)
	s_lshl_b32 s7, -1, s7
	v_cmpx_ne_u32_e32 0, v9
	s_xor_b32 s11, exec_lo, s11
; %bb.6:
	v_add_nc_u32_e32 v13, 0xffffff81, v9
	s_add_i32 s12, s7, 2
	v_or_b32_e32 v3, 0x800000, v0
	s_delay_alu instid0(VALU_DEP_2) | instskip(SKIP_1) | instid1(VALU_DEP_2)
	v_sub_nc_u32_e32 v4, s12, v13
	v_cmp_ge_i32_e32 vcc_lo, s12, v13
	v_cndmask_b32_e32 v14, 0, v4, vcc_lo
	v_mov_b32_e32 v4, v1
; %bb.7:
	s_and_not1_saveexec_b32 s11, s11
; %bb.8:
	s_add_i32 s12, s7, 0x80
	s_delay_alu instid0(SALU_CYCLE_1)
	v_dual_mov_b32 v13, 0xffffff82 :: v_dual_mov_b32 v14, s12
	v_dual_mov_b32 v4, v1 :: v_dual_mov_b32 v3, v0
; %bb.9:
	s_or_b32 exec_lo, exec_lo, s11
	s_delay_alu instid0(SALU_CYCLE_1) | instskip(NEXT) | instid1(VALU_DEP_2)
	s_mov_b32 s11, exec_lo
                                        ; implicit-def: $vgpr5_vgpr6
	v_cmpx_gt_i32_e32 1, v14
	s_xor_b32 s11, exec_lo, s11
; %bb.10:
	v_cmp_eq_u32_e32 vcc_lo, -1, v14
	v_cndmask_b32_e64 v5, 0, 1, vcc_lo
	s_delay_alu instid0(VALU_DEP_1)
	v_lshlrev_b64 v[5:6], v5, v[3:4]
; %bb.11:
	s_and_not1_saveexec_b32 s11, s11
; %bb.12:
	v_lshrrev_b64 v[5:6], v14, v[3:4]
; %bb.13:
	s_or_b32 exec_lo, exec_lo, s11
	s_delay_alu instid0(SALU_CYCLE_1) | instskip(SKIP_1) | instid1(SALU_CYCLE_1)
	s_and_b32 s1, s1, exec_lo
	s_cselect_b32 s11, 3, 2
	s_xor_b32 s12, s11, 23
	s_delay_alu instid0(SALU_CYCLE_1) | instskip(SKIP_1) | instid1(SALU_CYCLE_1)
	v_add_nc_u32_e32 v17, s12, v14
	s_lshl_b64 s[14:15], 1, s12
	s_add_u32 s13, s14, -1
	s_delay_alu instid0(VALU_DEP_1) | instskip(SKIP_1) | instid1(VALU_DEP_1)
	v_lshlrev_b64 v[15:16], v17, -1
	v_add_nc_u32_e32 v17, -1, v17
	v_lshlrev_b64 v[17:18], v17, 1
	s_delay_alu instid0(VALU_DEP_3) | instskip(NEXT) | instid1(VALU_DEP_4)
	v_not_b32_e32 v19, v16
	v_not_b32_e32 v20, v15
	v_and_b32_e32 v16, s15, v6
	v_and_b32_e32 v15, s14, v5
	s_addc_u32 s14, s15, -1
	v_and_b32_e32 v4, v4, v19
	v_and_b32_e32 v3, v3, v20
	s_delay_alu instid0(VALU_DEP_3) | instskip(NEXT) | instid1(VALU_DEP_2)
	v_cmp_eq_u64_e32 vcc_lo, 0, v[15:16]
	v_cmp_eq_u64_e64 s1, v[3:4], v[17:18]
	v_xad_u32 v4, s7, -1, v13
	v_bfe_u32 v13, v5, 23, 1
	s_delay_alu instid0(VALU_DEP_3) | instskip(NEXT) | instid1(VALU_DEP_1)
	s_and_b32 s1, s1, vcc_lo
	v_add3_u32 v13, v4, v14, v13
	v_cndmask_b32_e64 v3, 0, 1, s1
	s_mov_b32 s1, exec_lo
	s_delay_alu instid0(VALU_DEP_2) | instskip(NEXT) | instid1(VALU_DEP_2)
	v_add_nc_u32_e32 v14, -1, v13
	v_sub_co_u32 v3, vcc_lo, v5, v3
	v_subrev_co_ci_u32_e32 v15, vcc_lo, 0, v6, vcc_lo
	s_delay_alu instid0(VALU_DEP_2) | instskip(NEXT) | instid1(VALU_DEP_2)
	v_and_b32_e32 v3, s13, v3
	v_and_b32_e32 v4, s14, v15
	s_delay_alu instid0(VALU_DEP_2) | instskip(NEXT) | instid1(VALU_DEP_2)
	v_add_co_u32 v3, vcc_lo, v3, v5
	v_add_co_ci_u32_e32 v4, vcc_lo, v4, v6, vcc_lo
                                        ; implicit-def: $vgpr6
	v_cmpx_ne_u32_e32 0, v14
	s_xor_b32 s1, exec_lo, s1
; %bb.14:
	s_delay_alu instid0(VALU_DEP_3) | instskip(SKIP_1) | instid1(VALU_DEP_2)
	v_dual_mov_b32 v6, 0 :: v_dual_and_b32 v5, 0x1000000, v3
	v_bfe_u32 v15, v3, 24, 1
	v_cmp_eq_u64_e32 vcc_lo, 0, v[5:6]
	s_delay_alu instid0(VALU_DEP_2)
	v_lshrrev_b64 v[3:4], v15, v[3:4]
	v_cndmask_b32_e32 v6, v13, v14, vcc_lo
; %bb.15:
	s_and_not1_saveexec_b32 s1, s1
; %bb.16:
	s_delay_alu instid0(VALU_DEP_2)
	v_bfe_u32 v6, v3, 23, 1
; %bb.17:
	s_or_b32 exec_lo, exec_lo, s1
	s_delay_alu instid0(VALU_DEP_3)
	v_lshrrev_b64 v[3:4], s12, v[3:4]
	s_lshl_b32 s1, -1, s6
	s_mov_b32 s7, -1
	s_not_b32 s13, s1
	s_mov_b32 s1, exec_lo
                                        ; implicit-def: $vgpr5
	v_cmpx_lt_i32_e64 s13, v6
	s_cbranch_execz .LBB0_26
; %bb.18:
	s_and_b32 vcc_lo, exec_lo, s10
	s_cbranch_vccz .LBB0_21
; %bb.19:
	v_mov_b32_e32 v5, v12
	s_mov_b32 s6, 0
	s_branch .LBB0_22
.LBB0_20:
                                        ; implicit-def: $vgpr5
	s_branch .LBB0_40
.LBB0_21:
	s_mov_b32 s6, -1
                                        ; implicit-def: $vgpr5
.LBB0_22:
	s_delay_alu instid0(SALU_CYCLE_1)
	s_and_not1_b32 vcc_lo, exec_lo, s6
	s_cbranch_vccnz .LBB0_24
; %bb.23:
	s_lshl_b32 s6, -1, s11
	s_mov_b32 s10, -1
	s_not_b32 s6, s6
	s_mov_b32 s7, 0
                                        ; implicit-def: $vgpr5
	s_branch .LBB0_25
.LBB0_24:
	s_mov_b32 s10, 0
                                        ; implicit-def: $sgpr6_sgpr7
                                        ; implicit-def: $sgpr13
.LBB0_25:
	v_dual_mov_b32 v3, s6 :: v_dual_mov_b32 v4, s7
	v_mov_b32_e32 v6, s13
	s_or_not1_b32 s7, s10, exec_lo
.LBB0_26:
	s_or_b32 exec_lo, exec_lo, s1
	s_and_saveexec_b32 s6, s7
	s_cbranch_execz .LBB0_32
; %bb.27:
	v_cmp_ne_u64_e32 vcc_lo, 0, v[3:4]
	v_cmp_ne_u32_e64 s1, 0, v6
                                        ; implicit-def: $vgpr5
	s_delay_alu instid0(VALU_DEP_1) | instskip(NEXT) | instid1(SALU_CYCLE_1)
	s_or_b32 s1, s1, vcc_lo
	s_and_saveexec_b32 s7, s1
	s_delay_alu instid0(SALU_CYCLE_1)
	s_xor_b32 s1, exec_lo, s7
; %bb.28:
	v_lshl_or_b32 v4, v6, s11, v8
	s_lshl_b32 s7, -1, s11
	s_delay_alu instid0(SALU_CYCLE_1)
	s_not_b32 s7, s7
	s_delay_alu instid0(VALU_DEP_1) | instid1(SALU_CYCLE_1)
	v_and_or_b32 v5, v3, s7, v4
; %bb.29:
	s_and_not1_saveexec_b32 s1, s1
; %bb.30:
	v_mov_b32_e32 v5, v8
; %bb.31:
	s_or_b32 exec_lo, exec_lo, s1
.LBB0_32:
	s_delay_alu instid0(SALU_CYCLE_1)
	s_or_b32 exec_lo, exec_lo, s6
.LBB0_33:
	s_delay_alu instid0(SALU_CYCLE_1)
	s_or_b32 exec_lo, exec_lo, s9
                                        ; implicit-def: $vgpr12
.LBB0_34:
	s_and_not1_saveexec_b32 s1, s8
; %bb.35:
	v_mov_b32_e32 v5, v12
; %bb.36:
	s_or_b32 exec_lo, exec_lo, s1
                                        ; implicit-def: $vgpr12
.LBB0_37:
	s_and_not1_saveexec_b32 s1, s3
; %bb.38:
	v_cmp_eq_u64_e32 vcc_lo, 0, v[0:1]
	v_or_b32_e32 v3, 0x7f, v11
	s_delay_alu instid0(VALU_DEP_1)
	v_cndmask_b32_e32 v5, v3, v12, vcc_lo
; %bb.39:
	s_or_b32 exec_lo, exec_lo, s1
	s_cbranch_execnz .LBB0_68
.LBB0_40:
	v_or_b32_e32 v4, 0x7f, v11
	v_mov_b32_e32 v3, 0
	s_mov_b32 s1, exec_lo
	s_delay_alu instid0(VALU_DEP_2) | instskip(NEXT) | instid1(VALU_DEP_2)
	v_cndmask_b32_e64 v5, 0x80, v4, s0
	v_cmpx_ne_u64_e32 0x7f800000, v[2:3]
	s_xor_b32 s3, exec_lo, s1
	s_cbranch_execz .LBB0_67
; %bb.41:
	s_cmp_eq_u32 s2, 2
	v_and_b32_e32 v2, 0x7fffffff, v10
	s_cselect_b32 s1, -1, 0
	s_mov_b32 s2, 0x43700000
	s_and_b32 s6, s1, exec_lo
	s_cselect_b32 s6, s2, 0x47600000
	s_mov_b32 s7, 0
	s_mov_b32 s2, exec_lo
	v_cmpx_ge_u64_e64 s[6:7], v[2:3]
	s_xor_b32 s2, exec_lo, s2
	s_cbranch_execz .LBB0_66
; %bb.42:
	v_mov_b32_e32 v5, 0
	s_mov_b32 s6, exec_lo
	v_cmpx_ne_u32_e32 0, v10
	s_cbranch_execz .LBB0_65
; %bb.43:
	s_and_b32 s7, s1, exec_lo
	s_cselect_b32 s7, 4, 5
                                        ; implicit-def: $vgpr5
                                        ; implicit-def: $vgpr4
	s_delay_alu instid0(SALU_CYCLE_1) | instskip(NEXT) | instid1(SALU_CYCLE_1)
	s_add_i32 s8, s7, -1
	s_lshl_b32 s9, 1, s8
	s_mov_b32 s8, exec_lo
	v_cmpx_ne_u32_e32 0, v9
	s_xor_b32 s8, exec_lo, s8
; %bb.44:
	v_add_nc_u32_e32 v4, 0xffffff81, v9
	s_sub_i32 s10, 1, s9
	v_or_b32_e32 v0, 0x800000, v0
	s_delay_alu instid0(VALU_DEP_2) | instskip(SKIP_1) | instid1(VALU_DEP_2)
	v_sub_nc_u32_e32 v2, s10, v4
	v_cmp_ge_i32_e32 vcc_lo, s10, v4
	v_cndmask_b32_e32 v5, 0, v2, vcc_lo
; %bb.45:
	s_and_not1_saveexec_b32 s8, s8
; %bb.46:
	s_sub_i32 s10, 0x7f, s9
	s_delay_alu instid0(SALU_CYCLE_1)
	v_dual_mov_b32 v4, 0xffffff82 :: v_dual_mov_b32 v5, s10
; %bb.47:
	s_or_b32 exec_lo, exec_lo, s8
	s_delay_alu instid0(SALU_CYCLE_1) | instskip(NEXT) | instid1(VALU_DEP_1)
	s_mov_b32 s8, exec_lo
                                        ; implicit-def: $vgpr2_vgpr3
	v_cmpx_gt_i32_e32 1, v5
	s_xor_b32 s8, exec_lo, s8
; %bb.48:
	v_cmp_eq_u32_e32 vcc_lo, -1, v5
	v_cndmask_b32_e64 v2, 0, 1, vcc_lo
	s_delay_alu instid0(VALU_DEP_1)
	v_lshlrev_b64 v[2:3], v2, v[0:1]
; %bb.49:
	s_and_not1_saveexec_b32 s8, s8
; %bb.50:
	v_lshrrev_b64 v[2:3], v5, v[0:1]
; %bb.51:
	s_or_b32 exec_lo, exec_lo, s8
	s_delay_alu instid0(SALU_CYCLE_1) | instskip(SKIP_1) | instid1(SALU_CYCLE_1)
	s_and_b32 s1, s1, exec_lo
	s_cselect_b32 s8, 3, 2
	s_xor_b32 s10, s8, 23
	s_delay_alu instid0(SALU_CYCLE_1) | instskip(SKIP_1) | instid1(SALU_CYCLE_1)
	v_add_nc_u32_e32 v6, s10, v5
	s_lshl_b64 s[12:13], 1, s10
	s_add_u32 s11, s12, -1
	s_delay_alu instid0(VALU_DEP_1) | instskip(SKIP_1) | instid1(VALU_DEP_1)
	v_lshlrev_b64 v[9:10], v6, -1
	v_add_nc_u32_e32 v6, -1, v6
	v_lshlrev_b64 v[11:12], v6, 1
	s_delay_alu instid0(VALU_DEP_3) | instskip(NEXT) | instid1(VALU_DEP_4)
	v_not_b32_e32 v13, v10
	v_not_b32_e32 v14, v9
	v_and_b32_e32 v10, s13, v3
	v_and_b32_e32 v9, s12, v2
	s_addc_u32 s12, s13, -1
	v_and_b32_e32 v1, v1, v13
	v_and_b32_e32 v0, v0, v14
	s_delay_alu instid0(VALU_DEP_3) | instskip(NEXT) | instid1(VALU_DEP_2)
	v_cmp_eq_u64_e32 vcc_lo, 0, v[9:10]
	v_cmp_eq_u64_e64 s1, v[0:1], v[11:12]
	v_add_nc_u32_e32 v1, s9, v4
	v_bfe_u32 v4, v2, 23, 1
	s_delay_alu instid0(VALU_DEP_3) | instskip(NEXT) | instid1(VALU_DEP_1)
	s_and_b32 s1, s1, vcc_lo
	v_add3_u32 v4, v1, v5, v4
	v_cndmask_b32_e64 v0, 0, 1, s1
	s_mov_b32 s1, exec_lo
	s_delay_alu instid0(VALU_DEP_2) | instskip(NEXT) | instid1(VALU_DEP_2)
	v_add_nc_u32_e32 v5, -1, v4
	v_sub_co_u32 v0, vcc_lo, v2, v0
	v_subrev_co_ci_u32_e32 v6, vcc_lo, 0, v3, vcc_lo
	s_delay_alu instid0(VALU_DEP_2) | instskip(NEXT) | instid1(VALU_DEP_2)
	v_and_b32_e32 v0, s11, v0
	v_and_b32_e32 v1, s12, v6
	s_delay_alu instid0(VALU_DEP_2) | instskip(NEXT) | instid1(VALU_DEP_2)
	v_add_co_u32 v0, vcc_lo, v0, v2
	v_add_co_ci_u32_e32 v1, vcc_lo, v1, v3, vcc_lo
                                        ; implicit-def: $vgpr2
	v_cmpx_ne_u32_e32 0, v5
	s_xor_b32 s1, exec_lo, s1
; %bb.52:
	s_delay_alu instid0(VALU_DEP_3) | instskip(SKIP_1) | instid1(VALU_DEP_2)
	v_dual_mov_b32 v3, 0 :: v_dual_and_b32 v2, 0x1000000, v0
	v_bfe_u32 v6, v0, 24, 1
	v_cmp_eq_u64_e32 vcc_lo, 0, v[2:3]
	s_delay_alu instid0(VALU_DEP_2)
	v_lshrrev_b64 v[0:1], v6, v[0:1]
	v_cndmask_b32_e32 v2, v4, v5, vcc_lo
; %bb.53:
	s_and_not1_saveexec_b32 s1, s1
; %bb.54:
	s_delay_alu instid0(VALU_DEP_2)
	v_bfe_u32 v2, v0, 23, 1
; %bb.55:
	s_or_b32 exec_lo, exec_lo, s1
	s_delay_alu instid0(VALU_DEP_3)
	v_lshrrev_b64 v[0:1], s10, v[0:1]
	s_lshl_b32 s1, -1, s7
	s_mov_b32 s10, -1
	s_not_b32 s9, s1
	s_mov_b32 s7, exec_lo
                                        ; implicit-def: $sgpr1
	v_cmpx_lt_i32_e64 s9, v2
	s_cbranch_execz .LBB0_60
; %bb.56:
	s_and_b32 vcc_lo, exec_lo, s0
	s_cbranch_vccz .LBB0_58
; %bb.57:
	s_lshl_b32 s0, -1, s8
	s_mov_b32 s1, 0
	s_not_b32 s0, s0
	s_branch .LBB0_59
.LBB0_58:
	s_mov_b32 s10, 0
                                        ; implicit-def: $sgpr0_sgpr1
                                        ; implicit-def: $sgpr9
.LBB0_59:
	v_dual_mov_b32 v0, s0 :: v_dual_mov_b32 v1, s1
	v_mov_b32_e32 v2, s9
	s_movk_i32 s1, 0x80
	s_or_not1_b32 s10, s10, exec_lo
.LBB0_60:
	s_or_b32 exec_lo, exec_lo, s7
	v_mov_b32_e32 v5, s1
	s_and_saveexec_b32 s1, s10
	s_cbranch_execz .LBB0_64
; %bb.61:
	v_cmp_ne_u64_e32 vcc_lo, 0, v[0:1]
	v_cmp_ne_u32_e64 s0, 0, v2
	v_mov_b32_e32 v5, 0
	s_delay_alu instid0(VALU_DEP_2) | instskip(NEXT) | instid1(SALU_CYCLE_1)
	s_or_b32 s7, s0, vcc_lo
	s_and_saveexec_b32 s0, s7
; %bb.62:
	v_lshl_or_b32 v1, v2, s8, v8
	s_lshl_b32 s7, -1, s8
	s_delay_alu instid0(SALU_CYCLE_1)
	s_not_b32 s7, s7
	s_delay_alu instid0(VALU_DEP_1) | instid1(SALU_CYCLE_1)
	v_and_or_b32 v5, v0, s7, v1
; %bb.63:
	s_or_b32 exec_lo, exec_lo, s0
.LBB0_64:
	s_delay_alu instid0(SALU_CYCLE_1)
	s_or_b32 exec_lo, exec_lo, s1
.LBB0_65:
	s_delay_alu instid0(SALU_CYCLE_1)
	s_or_b32 exec_lo, exec_lo, s6
.LBB0_66:
	s_and_not1_saveexec_b32 s0, s2
	s_delay_alu instid0(SALU_CYCLE_1)
	s_or_b32 exec_lo, exec_lo, s0
.LBB0_67:
	s_and_not1_saveexec_b32 s0, s3
	s_delay_alu instid0(SALU_CYCLE_1)
	s_or_b32 exec_lo, exec_lo, s0
.LBB0_68:
	s_delay_alu instid0(VALU_DEP_1)
	v_cvt_f32_ubyte0_e32 v0, v5
	global_store_b32 v7, v0, s[4:5]
.LBB0_69:
	s_nop 0
	s_sendmsg sendmsg(MSG_DEALLOC_VGPRS)
	s_endpgm
	.section	.rodata,"a",@progbits
	.p2align	6, 0x0
	.amdhsa_kernel _Z21float_to_fp8_to_floatPf26__hip_fp8_interpretation_t18__hip_saturation_tS_m
		.amdhsa_group_segment_fixed_size 0
		.amdhsa_private_segment_fixed_size 0
		.amdhsa_kernarg_size 32
		.amdhsa_user_sgpr_count 15
		.amdhsa_user_sgpr_dispatch_ptr 0
		.amdhsa_user_sgpr_queue_ptr 0
		.amdhsa_user_sgpr_kernarg_segment_ptr 1
		.amdhsa_user_sgpr_dispatch_id 0
		.amdhsa_user_sgpr_private_segment_size 0
		.amdhsa_wavefront_size32 1
		.amdhsa_uses_dynamic_stack 0
		.amdhsa_enable_private_segment 0
		.amdhsa_system_sgpr_workgroup_id_x 1
		.amdhsa_system_sgpr_workgroup_id_y 0
		.amdhsa_system_sgpr_workgroup_id_z 0
		.amdhsa_system_sgpr_workgroup_info 0
		.amdhsa_system_vgpr_workitem_id 0
		.amdhsa_next_free_vgpr 21
		.amdhsa_next_free_sgpr 16
		.amdhsa_reserve_vcc 1
		.amdhsa_float_round_mode_32 0
		.amdhsa_float_round_mode_16_64 0
		.amdhsa_float_denorm_mode_32 3
		.amdhsa_float_denorm_mode_16_64 3
		.amdhsa_dx10_clamp 1
		.amdhsa_ieee_mode 1
		.amdhsa_fp16_overflow 0
		.amdhsa_workgroup_processor_mode 1
		.amdhsa_memory_ordered 1
		.amdhsa_forward_progress 0
		.amdhsa_shared_vgpr_count 0
		.amdhsa_exception_fp_ieee_invalid_op 0
		.amdhsa_exception_fp_denorm_src 0
		.amdhsa_exception_fp_ieee_div_zero 0
		.amdhsa_exception_fp_ieee_overflow 0
		.amdhsa_exception_fp_ieee_underflow 0
		.amdhsa_exception_fp_ieee_inexact 0
		.amdhsa_exception_int_div_zero 0
	.end_amdhsa_kernel
	.text
.Lfunc_end0:
	.size	_Z21float_to_fp8_to_floatPf26__hip_fp8_interpretation_t18__hip_saturation_tS_m, .Lfunc_end0-_Z21float_to_fp8_to_floatPf26__hip_fp8_interpretation_t18__hip_saturation_tS_m
                                        ; -- End function
	.section	.AMDGPU.csdata,"",@progbits
; Kernel info:
; codeLenInByte = 1768
; NumSgprs: 18
; NumVgprs: 21
; ScratchSize: 0
; MemoryBound: 0
; FloatMode: 240
; IeeeMode: 1
; LDSByteSize: 0 bytes/workgroup (compile time only)
; SGPRBlocks: 2
; VGPRBlocks: 2
; NumSGPRsForWavesPerEU: 18
; NumVGPRsForWavesPerEU: 21
; Occupancy: 16
; WaveLimiterHint : 0
; COMPUTE_PGM_RSRC2:SCRATCH_EN: 0
; COMPUTE_PGM_RSRC2:USER_SGPR: 15
; COMPUTE_PGM_RSRC2:TRAP_HANDLER: 0
; COMPUTE_PGM_RSRC2:TGID_X_EN: 1
; COMPUTE_PGM_RSRC2:TGID_Y_EN: 0
; COMPUTE_PGM_RSRC2:TGID_Z_EN: 0
; COMPUTE_PGM_RSRC2:TIDIG_COMP_CNT: 0
	.text
	.p2alignl 7, 3214868480
	.fill 96, 4, 3214868480
	.type	__hip_cuid_bb4f61ecff512b4d,@object ; @__hip_cuid_bb4f61ecff512b4d
	.section	.bss,"aw",@nobits
	.globl	__hip_cuid_bb4f61ecff512b4d
__hip_cuid_bb4f61ecff512b4d:
	.byte	0                               ; 0x0
	.size	__hip_cuid_bb4f61ecff512b4d, 1

	.ident	"AMD clang version 19.0.0git (https://github.com/RadeonOpenCompute/llvm-project roc-6.4.0 25133 c7fe45cf4b819c5991fe208aaa96edf142730f1d)"
	.section	".note.GNU-stack","",@progbits
	.addrsig
	.addrsig_sym __hip_cuid_bb4f61ecff512b4d
	.amdgpu_metadata
---
amdhsa.kernels:
  - .args:
      - .address_space:  global
        .offset:         0
        .size:           8
        .value_kind:     global_buffer
      - .offset:         8
        .size:           4
        .value_kind:     by_value
      - .offset:         12
        .size:           4
        .value_kind:     by_value
      - .address_space:  global
        .offset:         16
        .size:           8
        .value_kind:     global_buffer
      - .offset:         24
        .size:           8
        .value_kind:     by_value
    .group_segment_fixed_size: 0
    .kernarg_segment_align: 8
    .kernarg_segment_size: 32
    .language:       OpenCL C
    .language_version:
      - 2
      - 0
    .max_flat_workgroup_size: 1024
    .name:           _Z21float_to_fp8_to_floatPf26__hip_fp8_interpretation_t18__hip_saturation_tS_m
    .private_segment_fixed_size: 0
    .sgpr_count:     18
    .sgpr_spill_count: 0
    .symbol:         _Z21float_to_fp8_to_floatPf26__hip_fp8_interpretation_t18__hip_saturation_tS_m.kd
    .uniform_work_group_size: 1
    .uses_dynamic_stack: false
    .vgpr_count:     21
    .vgpr_spill_count: 0
    .wavefront_size: 32
    .workgroup_processor_mode: 1
amdhsa.target:   amdgcn-amd-amdhsa--gfx1100
amdhsa.version:
  - 1
  - 2
...

	.end_amdgpu_metadata
